;; amdgpu-corpus repo=ROCm/rocFFT kind=compiled arch=gfx906 opt=O3
	.text
	.amdgcn_target "amdgcn-amd-amdhsa--gfx906"
	.amdhsa_code_object_version 6
	.protected	fft_rtc_back_len128_factors_16_8_wgs_256_tpt_16_half_ip_CI_sbcc_dirReg ; -- Begin function fft_rtc_back_len128_factors_16_8_wgs_256_tpt_16_half_ip_CI_sbcc_dirReg
	.globl	fft_rtc_back_len128_factors_16_8_wgs_256_tpt_16_half_ip_CI_sbcc_dirReg
	.p2align	8
	.type	fft_rtc_back_len128_factors_16_8_wgs_256_tpt_16_half_ip_CI_sbcc_dirReg,@function
fft_rtc_back_len128_factors_16_8_wgs_256_tpt_16_half_ip_CI_sbcc_dirReg: ; @fft_rtc_back_len128_factors_16_8_wgs_256_tpt_16_half_ip_CI_sbcc_dirReg
; %bb.0:
	s_load_dwordx4 s[0:3], s[4:5], 0x18
	s_mov_b32 s7, 0
	s_mov_b64 s[24:25], 0
	s_waitcnt lgkmcnt(0)
	s_load_dwordx2 s[14:15], s[0:1], 0x8
	s_waitcnt lgkmcnt(0)
	s_add_u32 s8, s14, -1
	s_addc_u32 s9, s15, -1
	s_lshr_b64 s[8:9], s[8:9], 4
	s_add_u32 s20, s8, 1
	s_addc_u32 s21, s9, 0
	v_mov_b32_e32 v1, s20
	v_mov_b32_e32 v2, s21
	v_cmp_lt_u64_e32 vcc, s[6:7], v[1:2]
	s_cbranch_vccnz .LBB0_2
; %bb.1:
	v_cvt_f32_u32_e32 v1, s20
	s_sub_i32 s8, 0, s20
	s_mov_b32 s25, s7
	v_rcp_iflag_f32_e32 v1, v1
	v_mul_f32_e32 v1, 0x4f7ffffe, v1
	v_cvt_u32_f32_e32 v1, v1
	v_readfirstlane_b32 s9, v1
	s_mul_i32 s8, s8, s9
	s_mul_hi_u32 s8, s9, s8
	s_add_i32 s9, s9, s8
	s_mul_hi_u32 s8, s6, s9
	s_mul_i32 s10, s8, s20
	s_sub_i32 s10, s6, s10
	s_add_i32 s9, s8, 1
	s_sub_i32 s11, s10, s20
	s_cmp_ge_u32 s10, s20
	s_cselect_b32 s8, s9, s8
	s_cselect_b32 s10, s11, s10
	s_add_i32 s9, s8, 1
	s_cmp_ge_u32 s10, s20
	s_cselect_b32 s24, s9, s8
.LBB0_2:
	s_load_dwordx2 s[16:17], s[4:5], 0x0
	s_load_dwordx4 s[8:11], s[2:3], 0x0
	s_mul_i32 s12, s24, s21
	s_mul_hi_u32 s13, s24, s20
	s_add_i32 s13, s13, s12
	s_mul_i32 s12, s24, s20
	s_sub_u32 s18, s6, s12
	s_subb_u32 s19, 0, s13
	v_mov_b32_e32 v1, s18
	v_alignbit_b32 v1, s19, v1, 28
	s_waitcnt lgkmcnt(0)
	v_mul_lo_u32 v1, s10, v1
	s_load_dwordx2 s[12:13], s[4:5], 0x58
	s_load_dwordx2 s[22:23], s[4:5], 0x10
	s_lshl_b64 s[18:19], s[18:19], 4
	s_mul_hi_u32 s4, s10, s18
	v_add_u32_e32 v1, s4, v1
	s_mul_i32 s4, s11, s18
	v_add_u32_e32 v3, s4, v1
	s_waitcnt lgkmcnt(0)
	v_cmp_lt_u64_e64 s[4:5], s[22:23], 3
	s_mul_i32 s26, s10, s18
	v_mov_b32_e32 v4, s26
	s_and_b64 vcc, exec, s[4:5]
	s_cbranch_vccnz .LBB0_11
; %bb.3:
	s_add_u32 s4, s2, 16
	s_addc_u32 s5, s3, 0
	s_add_u32 s26, s0, 16
	v_mov_b32_e32 v1, s22
	s_addc_u32 s27, s1, 0
	s_mov_b64 s[28:29], 2
	s_mov_b32 s30, 0
	v_mov_b32_e32 v2, s23
	s_branch .LBB0_5
.LBB0_4:                                ;   in Loop: Header=BB0_5 Depth=1
	s_mul_i32 s21, s34, s21
	s_mul_hi_u32 s31, s34, s20
	s_add_i32 s21, s31, s21
	s_mul_i32 s31, s35, s20
	s_add_i32 s21, s21, s31
	s_mul_i32 s31, s0, s35
	s_mul_hi_u32 s33, s0, s34
	s_load_dwordx2 s[36:37], s[4:5], 0x0
	s_add_i32 s31, s33, s31
	s_mul_i32 s33, s1, s34
	s_add_i32 s31, s31, s33
	s_mul_i32 s33, s0, s34
	s_sub_u32 s24, s24, s33
	s_subb_u32 s25, s25, s31
	s_waitcnt lgkmcnt(0)
	s_mul_i32 s25, s36, s25
	s_mul_hi_u32 s31, s36, s24
	s_add_i32 s25, s31, s25
	s_mul_i32 s31, s37, s24
	s_add_i32 s25, s25, s31
	s_mul_i32 s24, s36, s24
	s_add_u32 s28, s28, 1
	v_mov_b32_e32 v5, s25
	v_add_co_u32_e32 v4, vcc, s24, v4
	s_addc_u32 s29, s29, 0
	v_addc_co_u32_e32 v3, vcc, v5, v3, vcc
	s_add_u32 s4, s4, 8
	s_addc_u32 s5, s5, 0
	v_cmp_ge_u64_e32 vcc, s[28:29], v[1:2]
	s_add_u32 s26, s26, 8
	s_mul_i32 s20, s34, s20
	s_addc_u32 s27, s27, 0
	s_mov_b64 s[24:25], s[0:1]
	s_cbranch_vccnz .LBB0_9
.LBB0_5:                                ; =>This Inner Loop Header: Depth=1
	s_load_dwordx2 s[34:35], s[26:27], 0x0
	s_waitcnt lgkmcnt(0)
	s_or_b64 s[0:1], s[24:25], s[34:35]
	s_mov_b32 s31, s1
	s_cmp_lg_u64 s[30:31], 0
	s_cbranch_scc0 .LBB0_7
; %bb.6:                                ;   in Loop: Header=BB0_5 Depth=1
	v_cvt_f32_u32_e32 v5, s34
	v_cvt_f32_u32_e32 v6, s35
	s_sub_u32 s0, 0, s34
	s_subb_u32 s1, 0, s35
	v_mac_f32_e32 v5, 0x4f800000, v6
	v_rcp_f32_e32 v5, v5
	v_mul_f32_e32 v5, 0x5f7ffffc, v5
	v_mul_f32_e32 v6, 0x2f800000, v5
	v_trunc_f32_e32 v6, v6
	v_mac_f32_e32 v5, 0xcf800000, v6
	v_cvt_u32_f32_e32 v6, v6
	v_cvt_u32_f32_e32 v5, v5
	v_readfirstlane_b32 s31, v6
	v_readfirstlane_b32 s33, v5
	s_mul_i32 s36, s0, s31
	s_mul_hi_u32 s38, s0, s33
	s_mul_i32 s37, s1, s33
	s_add_i32 s36, s38, s36
	s_mul_i32 s39, s0, s33
	s_add_i32 s36, s36, s37
	s_mul_hi_u32 s37, s33, s36
	s_mul_i32 s38, s33, s36
	s_mul_hi_u32 s33, s33, s39
	s_add_u32 s33, s33, s38
	s_addc_u32 s37, 0, s37
	s_mul_hi_u32 s40, s31, s39
	s_mul_i32 s39, s31, s39
	s_add_u32 s33, s33, s39
	s_mul_hi_u32 s38, s31, s36
	s_addc_u32 s33, s37, s40
	s_addc_u32 s37, s38, 0
	s_mul_i32 s36, s31, s36
	s_add_u32 s33, s33, s36
	s_addc_u32 s36, 0, s37
	v_add_co_u32_e32 v5, vcc, s33, v5
	s_cmp_lg_u64 vcc, 0
	s_addc_u32 s31, s31, s36
	v_readfirstlane_b32 s36, v5
	s_mul_i32 s33, s0, s31
	s_mul_hi_u32 s37, s0, s36
	s_add_i32 s33, s37, s33
	s_mul_i32 s1, s1, s36
	s_add_i32 s33, s33, s1
	s_mul_i32 s0, s0, s36
	s_mul_hi_u32 s37, s31, s0
	s_mul_i32 s38, s31, s0
	s_mul_i32 s40, s36, s33
	s_mul_hi_u32 s0, s36, s0
	s_mul_hi_u32 s39, s36, s33
	s_add_u32 s0, s0, s40
	s_addc_u32 s36, 0, s39
	s_add_u32 s0, s0, s38
	s_mul_hi_u32 s1, s31, s33
	s_addc_u32 s0, s36, s37
	s_addc_u32 s1, s1, 0
	s_mul_i32 s33, s31, s33
	s_add_u32 s0, s0, s33
	s_addc_u32 s1, 0, s1
	v_add_co_u32_e32 v5, vcc, s0, v5
	s_cmp_lg_u64 vcc, 0
	s_addc_u32 s0, s31, s1
	v_readfirstlane_b32 s33, v5
	s_mul_i32 s31, s24, s0
	s_mul_hi_u32 s36, s24, s33
	s_mul_hi_u32 s1, s24, s0
	s_add_u32 s31, s36, s31
	s_addc_u32 s1, 0, s1
	s_mul_hi_u32 s37, s25, s33
	s_mul_i32 s33, s25, s33
	s_add_u32 s31, s31, s33
	s_mul_hi_u32 s36, s25, s0
	s_addc_u32 s1, s1, s37
	s_addc_u32 s31, s36, 0
	s_mul_i32 s0, s25, s0
	s_add_u32 s33, s1, s0
	s_addc_u32 s31, 0, s31
	s_mul_i32 s0, s34, s31
	s_mul_hi_u32 s1, s34, s33
	s_add_i32 s0, s1, s0
	s_mul_i32 s1, s35, s33
	s_add_i32 s36, s0, s1
	s_mul_i32 s1, s34, s33
	v_mov_b32_e32 v5, s1
	s_sub_i32 s0, s25, s36
	v_sub_co_u32_e32 v5, vcc, s24, v5
	s_cmp_lg_u64 vcc, 0
	s_subb_u32 s37, s0, s35
	v_subrev_co_u32_e64 v6, s[0:1], s34, v5
	s_cmp_lg_u64 s[0:1], 0
	s_subb_u32 s0, s37, 0
	s_cmp_ge_u32 s0, s35
	v_readfirstlane_b32 s37, v6
	s_cselect_b32 s1, -1, 0
	s_cmp_ge_u32 s37, s34
	s_cselect_b32 s37, -1, 0
	s_cmp_eq_u32 s0, s35
	s_cselect_b32 s0, s37, s1
	s_add_u32 s1, s33, 1
	s_addc_u32 s37, s31, 0
	s_add_u32 s38, s33, 2
	s_addc_u32 s39, s31, 0
	s_cmp_lg_u32 s0, 0
	s_cselect_b32 s0, s38, s1
	s_cselect_b32 s1, s39, s37
	s_cmp_lg_u64 vcc, 0
	s_subb_u32 s36, s25, s36
	s_cmp_ge_u32 s36, s35
	v_readfirstlane_b32 s38, v5
	s_cselect_b32 s37, -1, 0
	s_cmp_ge_u32 s38, s34
	s_cselect_b32 s38, -1, 0
	s_cmp_eq_u32 s36, s35
	s_cselect_b32 s36, s38, s37
	s_cmp_lg_u32 s36, 0
	s_cselect_b32 s1, s1, s31
	s_cselect_b32 s0, s0, s33
	s_cbranch_execnz .LBB0_4
	s_branch .LBB0_8
.LBB0_7:                                ;   in Loop: Header=BB0_5 Depth=1
                                        ; implicit-def: $sgpr0_sgpr1
.LBB0_8:                                ;   in Loop: Header=BB0_5 Depth=1
	v_cvt_f32_u32_e32 v5, s34
	s_sub_i32 s0, 0, s34
	v_rcp_iflag_f32_e32 v5, v5
	v_mul_f32_e32 v5, 0x4f7ffffe, v5
	v_cvt_u32_f32_e32 v5, v5
	v_readfirstlane_b32 s1, v5
	s_mul_i32 s0, s0, s1
	s_mul_hi_u32 s0, s1, s0
	s_add_i32 s1, s1, s0
	s_mul_hi_u32 s0, s24, s1
	s_mul_i32 s31, s0, s34
	s_sub_i32 s31, s24, s31
	s_add_i32 s1, s0, 1
	s_sub_i32 s33, s31, s34
	s_cmp_ge_u32 s31, s34
	s_cselect_b32 s0, s1, s0
	s_cselect_b32 s31, s33, s31
	s_add_i32 s1, s0, 1
	s_cmp_ge_u32 s31, s34
	s_cselect_b32 s0, s1, s0
	s_mov_b32 s1, s30
	s_branch .LBB0_4
.LBB0_9:
	v_mov_b32_e32 v1, s20
	v_mov_b32_e32 v2, s21
	v_cmp_lt_u64_e32 vcc, s[6:7], v[1:2]
	s_mov_b64 s[24:25], 0
	s_cbranch_vccnz .LBB0_11
; %bb.10:
	v_cvt_f32_u32_e32 v1, s20
	s_sub_i32 s0, 0, s20
	v_rcp_iflag_f32_e32 v1, v1
	v_mul_f32_e32 v1, 0x4f7ffffe, v1
	v_cvt_u32_f32_e32 v1, v1
	v_readfirstlane_b32 s1, v1
	s_mul_i32 s0, s0, s1
	s_mul_hi_u32 s0, s1, s0
	s_add_i32 s1, s1, s0
	s_mul_hi_u32 s0, s6, s1
	s_mul_i32 s4, s0, s20
	s_sub_i32 s4, s6, s4
	s_add_i32 s1, s0, 1
	s_sub_i32 s5, s4, s20
	s_cmp_ge_u32 s4, s20
	s_cselect_b32 s0, s1, s0
	s_cselect_b32 s4, s5, s4
	s_add_i32 s1, s0, 1
	s_cmp_ge_u32 s4, s20
	s_cselect_b32 s24, s1, s0
.LBB0_11:
	s_lshl_b64 s[0:1], s[22:23], 3
	s_add_u32 s0, s2, s0
	s_addc_u32 s1, s3, s1
	s_load_dwordx2 s[0:1], s[0:1], 0x0
	v_and_b32_e32 v5, 15, v0
                                        ; implicit-def: $vgpr6
                                        ; implicit-def: $vgpr17
                                        ; implicit-def: $vgpr8
                                        ; implicit-def: $vgpr14
                                        ; implicit-def: $vgpr7
                                        ; implicit-def: $vgpr15
                                        ; implicit-def: $vgpr9
                                        ; implicit-def: $vgpr18
                                        ; implicit-def: $vgpr10
                                        ; implicit-def: $vgpr19
                                        ; implicit-def: $vgpr11
                                        ; implicit-def: $vgpr20
                                        ; implicit-def: $vgpr12
                                        ; implicit-def: $vgpr21
                                        ; implicit-def: $vgpr13
                                        ; implicit-def: $vgpr22
	s_waitcnt lgkmcnt(0)
	s_mul_i32 s1, s1, s24
	s_mul_hi_u32 s2, s0, s24
	s_mul_i32 s0, s0, s24
	s_add_i32 s1, s2, s1
	v_mov_b32_e32 v2, s1
	v_add_co_u32_e32 v1, vcc, s0, v4
	v_addc_co_u32_e32 v2, vcc, v2, v3, vcc
	s_add_u32 s0, s18, 16
	v_mov_b32_e32 v3, s14
	s_addc_u32 s1, s19, 0
	v_mov_b32_e32 v4, s15
	v_cmp_gt_u64_e32 vcc, s[0:1], v[3:4]
	v_cmp_le_u64_e64 s[0:1], s[0:1], v[3:4]
	s_movk_i32 s2, 0x80
	v_lshrrev_b32_e32 v4, 4, v0
	v_cmp_gt_u32_e64 s[2:3], s2, v0
	v_lshlrev_b64 v[0:1], 2, v[1:2]
	s_and_b64 s[4:5], s[2:3], s[0:1]
	s_and_saveexec_b64 s[6:7], s[4:5]
	s_cbranch_execnz .LBB0_18
; %bb.12:
	s_or_b64 exec, exec, s[6:7]
	s_andn2_b64 vcc, exec, vcc
	v_or_b32_e32 v2, s18, v5
	s_cbranch_vccz .LBB0_19
.LBB0_13:
	v_lshlrev_b32_e32 v16, 2, v5
	s_and_saveexec_b64 s[4:5], s[2:3]
	s_cbranch_execz .LBB0_15
.LBB0_14:
	s_waitcnt vmcnt(1)
	v_pk_add_f16 v3, v10, v19 neg_lo:[0,1] neg_hi:[0,1]
	v_pk_add_f16 v21, v12, v21 neg_lo:[0,1] neg_hi:[0,1]
	s_waitcnt vmcnt(0)
	v_pk_add_f16 v17, v6, v17 neg_lo:[0,1] neg_hi:[0,1]
	v_pk_add_f16 v14, v8, v14 neg_lo:[0,1] neg_hi:[0,1]
	;; [unrolled: 1-line block ×5, first 2 shown]
	v_lshrrev_b32_e32 v20, 16, v3
	v_pk_add_f16 v22, v13, v22 neg_lo:[0,1] neg_hi:[0,1]
	s_movk_i32 s2, 0x39a8
	v_lshrrev_b32_e32 v26, 16, v21
	v_add_f16_sdwa v29, v17, v14 dst_sel:DWORD dst_unused:UNUSED_PAD src0_sel:DWORD src1_sel:WORD_1
	v_lshrrev_b32_e32 v30, 16, v15
	v_add_f16_sdwa v32, v15, v18 dst_sel:DWORD dst_unused:UNUSED_PAD src0_sel:DWORD src1_sel:WORD_1
	v_sub_f16_e32 v23, v20, v19
	v_sub_f16_sdwa v24, v21, v22 dst_sel:DWORD dst_unused:UNUSED_PAD src0_sel:DWORD src1_sel:WORD_1
	v_add_f16_e32 v27, v26, v22
	v_sub_f16_e32 v31, v30, v18
	v_fma_f16 v33, v32, s2, v29
	v_add_f16_sdwa v35, v3, v19 dst_sel:DWORD dst_unused:UNUSED_PAD src0_sel:DWORD src1_sel:WORD_1
	v_lshrrev_b32_e32 v39, 16, v17
	v_fma_f16 v25, v24, s2, v23
	s_mov_b32 s3, 0xb9a8
	v_fma_f16 v33, v31, s2, v33
	v_fma_f16 v36, v27, s2, v35
	v_sub_f16_e32 v40, v39, v14
	v_fma_f16 v25, v27, s3, v25
	v_fma_f16 v34, v29, 2.0, -v33
	v_fma_f16 v36, v24, s2, v36
	v_fma_f16 v41, v31, s2, v40
	v_fma_f16 v26, v26, 2.0, -v27
	v_fma_f16 v27, v30, 2.0, -v31
	;; [unrolled: 1-line block ×6, first 2 shown]
	v_fma_f16 v41, v32, s3, v41
	v_fma_f16 v20, v20, 2.0, -v23
	v_fma_f16 v23, v21, 2.0, -v24
	v_fma_f16 v31, v30, s3, v29
	v_fma_f16 v32, v3, 2.0, -v35
	v_fma_f16 v35, v39, 2.0, -v40
	v_pk_fma_f16 v6, v6, 2.0, v17 op_sel_hi:[1,0,1] neg_lo:[0,0,1] neg_hi:[0,0,1]
	v_pk_fma_f16 v8, v8, 2.0, v14 op_sel_hi:[1,0,1] neg_lo:[0,0,1] neg_hi:[0,0,1]
	;; [unrolled: 1-line block ×4, first 2 shown]
	v_fma_f16 v24, v23, s3, v20
	v_fma_f16 v31, v27, s2, v31
	;; [unrolled: 1-line block ×3, first 2 shown]
	v_pk_add_f16 v8, v6, v8 neg_lo:[0,1] neg_hi:[0,1]
	v_pk_add_f16 v9, v7, v9 neg_lo:[0,1] neg_hi:[0,1]
	v_fma_f16 v24, v26, s3, v24
	v_fma_f16 v26, v26, s3, v32
	;; [unrolled: 1-line block ×3, first 2 shown]
	v_pk_fma_f16 v3, v10, 2.0, v3 op_sel_hi:[1,0,1] neg_lo:[0,0,1] neg_hi:[0,0,1]
	v_pk_fma_f16 v10, v11, 2.0, v19 op_sel_hi:[1,0,1] neg_lo:[0,0,1] neg_hi:[0,0,1]
	;; [unrolled: 1-line block ×4, first 2 shown]
	s_mov_b32 s3, 0xffff
	v_pk_add_f16 v14, v8, v9 op_sel:[0,1] op_sel_hi:[1,0]
	v_pk_add_f16 v15, v8, v9 op_sel:[0,1] op_sel_hi:[1,0] neg_lo:[0,1] neg_hi:[0,1]
	v_pk_add_f16 v10, v3, v10 neg_lo:[0,1] neg_hi:[0,1]
	v_pk_add_f16 v12, v11, v12 neg_lo:[0,1] neg_hi:[0,1]
	v_bfi_b32 v14, s3, v14, v15
	s_movk_i32 s20, 0x361f
	v_pk_add_f16 v13, v10, v12
	v_pk_add_f16 v19, v10, v12 neg_lo:[0,1] neg_hi:[0,1]
	v_pk_fma_f16 v18, v8, 2.0, v14 op_sel_hi:[1,0,1] neg_lo:[0,0,1] neg_hi:[0,0,1]
	v_pk_fma_f16 v6, v6, 2.0, v8 op_sel_hi:[1,0,1] neg_lo:[0,0,1] neg_hi:[0,0,1]
	;; [unrolled: 1-line block ×5, first 2 shown]
	s_mov_b32 s18, 0xbb64
	v_fma_f16 v23, v23, s2, v26
	v_fma_f16 v30, v24, s20, v27
	v_bfi_b32 v13, s3, v13, v19
	v_pk_add_f16 v7, v6, v7 neg_lo:[0,1] neg_hi:[0,1]
	v_pk_add_f16 v8, v3, v8 op_sel:[1,0] op_sel_hi:[0,1] neg_lo:[0,1] neg_hi:[0,1]
	s_movk_i32 s7, 0x3b64
	v_fma_f16 v26, v23, s20, v31
	v_fma_f16 v30, v23, s18, v30
	v_fma_f16 v29, v29, 2.0, -v31
	v_fma_f16 v23, v32, 2.0, -v23
	v_pk_fma_f16 v15, v10, 2.0, v13 op_sel_hi:[1,0,1] neg_lo:[0,0,1] neg_hi:[0,0,1]
	v_pk_add_f16 v9, v7, v8
	v_pk_add_f16 v10, v7, v8 neg_lo:[0,1] neg_hi:[0,1]
	v_pk_fma_f16 v6, v6, 2.0, v7 op_sel_hi:[1,0,1] neg_lo:[0,0,1] neg_hi:[0,0,1]
	v_pk_fma_f16 v3, v3, 2.0, v8 op_sel:[1,0,0] op_sel_hi:[0,0,1] neg_lo:[0,0,1] neg_hi:[0,0,1]
	v_fma_f16 v42, v40, 2.0, -v41
	v_fma_f16 v26, v24, s7, v26
	v_fma_f16 v40, v27, 2.0, -v30
	v_fma_f16 v20, v20, 2.0, -v24
	v_fma_f16 v24, v23, s18, v29
	v_fma_f16 v27, v35, 2.0, -v27
	v_bfi_b32 v9, s3, v9, v10
	v_pk_add_f16 v3, v6, v3 op_sel:[0,1] op_sel_hi:[1,0] neg_lo:[0,1] neg_hi:[0,1]
	s_mov_b32 s6, 0xb61f
	v_fma_f16 v24, v20, s20, v24
	v_fma_f16 v20, v20, s18, v27
	v_pk_fma_f16 v10, v7, 2.0, v9 op_sel_hi:[1,0,1] neg_lo:[0,0,1] neg_hi:[0,0,1]
	v_lshrrev_b32_e32 v7, 16, v6
	v_lshrrev_b32_e32 v8, 16, v3
	v_fma_f16 v38, v37, s6, v34
	v_fma_f16 v20, v23, s6, v20
	v_fma_f16 v7, v7, 2.0, -v8
	v_fma_f16 v38, v28, s7, v38
	v_fma_f16 v28, v28, s6, v42
	v_fma_f16 v39, v31, 2.0, -v26
	v_fma_f16 v29, v29, 2.0, -v24
	;; [unrolled: 1-line block ×3, first 2 shown]
	v_lshlrev_b32_e32 v27, 10, v4
	v_lshlrev_b32_e32 v7, 16, v7
	v_fma_f16 v6, v6, 2.0, -v3
	v_fma_f16 v28, v37, s18, v28
	v_fma_f16 v37, v36, s7, v33
	v_add3_u32 v27, 0, v27, v16
	v_pack_b32_f16 v23, v29, v23
	v_pk_mul_f16 v17, v15, s2 op_sel_hi:[1,0]
	v_pk_fma_f16 v15, v15, s2, v18 op_sel_hi:[1,0,1] neg_lo:[1,0,0] neg_hi:[1,0,0]
	v_pack_b32_f16 v11, v39, v40
	v_or_b32_sdwa v6, v7, v6 dst_sel:DWORD dst_unused:UNUSED_PAD src0_sel:DWORD src1_sel:WORD_0
	v_fma_f16 v37, v25, s20, v37
	v_fma_f16 v25, v25, s7, v41
	v_pk_add_f16 v19, v15, v17 op_sel:[0,1] op_sel_hi:[1,0]
	v_pk_add_f16 v15, v15, v17 op_sel:[0,1] op_sel_hi:[1,0] neg_lo:[0,1] neg_hi:[0,1]
	ds_write2_b32 v27, v10, v11 offset0:64 offset1:80
	v_pk_mul_f16 v10, v13, s2 op_sel_hi:[1,0]
	v_pk_fma_f16 v11, v13, s2, v14 op_sel_hi:[1,0,1]
	ds_write2_b32 v27, v6, v23 offset1:16
	v_pack_b32_f16 v6, v24, v20
	v_fma_f16 v25, v36, s6, v25
	v_bfi_b32 v15, s3, v19, v15
	v_pk_add_f16 v12, v11, v10 op_sel:[0,1] op_sel_hi:[1,0]
	v_pk_add_f16 v10, v11, v10 op_sel:[0,1] op_sel_hi:[1,0] neg_lo:[0,1] neg_hi:[0,1]
	ds_write2_b32 v27, v3, v6 offset0:128 offset1:144
	v_pack_b32_f16 v3, v38, v28
	v_fma_f16 v33, v33, 2.0, -v37
	v_fma_f16 v36, v41, 2.0, -v25
	;; [unrolled: 1-line block ×4, first 2 shown]
	v_bfi_b32 v10, s3, v12, v10
	ds_write2_b32 v27, v15, v3 offset0:160 offset1:176
	v_pack_b32_f16 v3, v26, v30
	v_pk_fma_f16 v17, v18, 2.0, v15 op_sel_hi:[1,0,1] neg_lo:[0,0,1] neg_hi:[0,0,1]
	v_pack_b32_f16 v18, v34, v41
	v_pk_fma_f16 v11, v14, 2.0, v10 op_sel_hi:[1,0,1] neg_lo:[0,0,1] neg_hi:[0,0,1]
	v_pack_b32_f16 v12, v33, v36
	ds_write2_b32 v27, v9, v3 offset0:192 offset1:208
	v_pack_b32_f16 v3, v37, v25
	ds_write2_b32 v27, v17, v18 offset0:32 offset1:48
	ds_write2_b32 v27, v11, v12 offset0:96 offset1:112
	;; [unrolled: 1-line block ×3, first 2 shown]
.LBB0_15:
	s_or_b64 exec, exec, s[4:5]
	v_mov_b32_e32 v3, s19
	v_cmp_gt_u64_e32 vcc, s[14:15], v[2:3]
	s_waitcnt lgkmcnt(0)
	s_or_b64 s[0:1], s[0:1], vcc
	s_waitcnt vmcnt(0)
	s_barrier
	s_and_saveexec_b64 s[2:3], s[0:1]
	s_cbranch_execz .LBB0_17
; %bb.16:
	v_mul_u32_u24_e32 v2, 7, v4
	v_lshlrev_b32_e32 v2, 2, v2
	global_load_dwordx4 v[6:9], v2, s[16:17]
	global_load_dwordx3 v[10:12], v2, s[16:17] offset:16
	v_lshlrev_b32_e32 v2, 6, v4
	v_add3_u32 v17, 0, v2, v16
	ds_read2st64_b32 v[2:3], v17 offset1:4
	ds_read2st64_b32 v[13:14], v17 offset0:16 offset1:20
	ds_read2st64_b32 v[15:16], v17 offset0:8 offset1:12
	;; [unrolled: 1-line block ×3, first 2 shown]
	s_movk_i32 s0, 0x39a8
	s_waitcnt lgkmcnt(3)
	v_lshrrev_b32_e32 v23, 16, v3
	s_waitcnt lgkmcnt(2)
	v_lshrrev_b32_e32 v20, 16, v13
	;; [unrolled: 2-line block ×4, first 2 shown]
	v_lshrrev_b32_e32 v24, 16, v14
	v_lshrrev_b32_e32 v25, 16, v16
	;; [unrolled: 1-line block ×4, first 2 shown]
	s_mov_b32 s1, 0xb9a8
	s_waitcnt vmcnt(1)
	v_mul_f16_sdwa v27, v9, v13 dst_sel:DWORD dst_unused:UNUSED_PAD src0_sel:WORD_1 src1_sel:DWORD
	v_mul_f16_sdwa v28, v7, v21 dst_sel:DWORD dst_unused:UNUSED_PAD src0_sel:WORD_1 src1_sel:DWORD
	s_waitcnt vmcnt(0)
	v_mul_f16_sdwa v29, v22, v11 dst_sel:DWORD dst_unused:UNUSED_PAD src0_sel:DWORD src1_sel:WORD_1
	v_mul_f16_sdwa v30, v6, v3 dst_sel:DWORD dst_unused:UNUSED_PAD src0_sel:WORD_1 src1_sel:DWORD
	v_mul_f16_sdwa v31, v10, v14 dst_sel:DWORD dst_unused:UNUSED_PAD src0_sel:WORD_1 src1_sel:DWORD
	v_mul_f16_sdwa v32, v8, v25 dst_sel:DWORD dst_unused:UNUSED_PAD src0_sel:WORD_1 src1_sel:DWORD
	v_mul_f16_sdwa v33, v26, v12 dst_sel:DWORD dst_unused:UNUSED_PAD src0_sel:DWORD src1_sel:WORD_1
	v_mul_f16_sdwa v34, v6, v23 dst_sel:DWORD dst_unused:UNUSED_PAD src0_sel:WORD_1 src1_sel:DWORD
	v_mul_f16_sdwa v35, v10, v24 dst_sel:DWORD dst_unused:UNUSED_PAD src0_sel:WORD_1 src1_sel:DWORD
	v_mul_f16_sdwa v36, v8, v16 dst_sel:DWORD dst_unused:UNUSED_PAD src0_sel:WORD_1 src1_sel:DWORD
	;; [unrolled: 4-line block ×3, first 2 shown]
	v_fma_f16 v20, v9, v20, -v27
	v_fma_f16 v15, v7, v15, v28
	v_fma_f16 v17, v11, v17, v29
	v_fma_f16 v23, v6, v23, -v30
	v_fma_f16 v24, v10, v24, -v31
	v_fma_f16 v16, v8, v16, v32
	v_fma_f16 v18, v18, v12, v33
	;; [unrolled: 1-line block ×4, first 2 shown]
	v_fma_f16 v8, v8, v25, -v36
	v_fma_f16 v10, v26, v12, -v37
	v_fma_f16 v9, v9, v13, v38
	v_fma_f16 v7, v7, v21, -v39
	v_fma_f16 v11, v22, v11, -v40
	v_sub_f16_e32 v12, v19, v20
	v_sub_f16_e32 v13, v15, v17
	;; [unrolled: 1-line block ×10, first 2 shown]
	v_add_f16_e32 v21, v6, v10
	v_add_f16_e32 v22, v9, v11
	v_fma_f16 v19, v19, 2.0, -v12
	v_fma_f16 v7, v7, 2.0, -v11
	;; [unrolled: 1-line block ×8, first 2 shown]
	v_fma_f16 v10, v20, s0, v18
	v_fma_f16 v16, v21, s0, v22
	v_sub_f16_e32 v7, v19, v7
	v_sub_f16_e32 v17, v11, v3
	;; [unrolled: 1-line block ×3, first 2 shown]
	v_fma_f16 v12, v12, 2.0, -v18
	v_fma_f16 v13, v14, 2.0, -v20
	v_sub_f16_e32 v8, v15, v8
	v_fma_f16 v6, v6, 2.0, -v21
	v_fma_f16 v9, v9, 2.0, -v22
	v_fma_f16 v14, v21, s1, v10
	v_fma_f16 v16, v20, s0, v16
	v_sub_f16_e32 v20, v7, v17
	v_fma_f16 v10, v13, s1, v12
	v_fma_f16 v23, v6, s1, v9
	v_fma_f16 v24, v7, 2.0, -v20
	v_fma_f16 v26, v6, s1, v10
	v_fma_f16 v6, v19, 2.0, -v7
	v_fma_f16 v7, v15, 2.0, -v8
	v_add_f16_e32 v21, v3, v8
	v_sub_f16_e32 v15, v6, v7
	v_fma_f16 v25, v3, 2.0, -v21
	v_fma_f16 v13, v13, s0, v23
	v_fma_f16 v19, v6, 2.0, -v15
	v_fma_f16 v27, v2, 2.0, -v3
	v_mad_u64_u32 v[2:3], s[0:1], s10, v5, 0
	v_mad_u64_u32 v[6:7], s[0:1], s8, v4, 0
	v_fma_f16 v23, v9, 2.0, -v13
	v_mad_u64_u32 v[8:9], s[0:1], s11, v5, v[3:4]
	v_mov_b32_e32 v3, v7
	v_mad_u64_u32 v[9:10], s[0:1], s9, v4, v[3:4]
	v_mov_b32_e32 v3, v8
	v_mov_b32_e32 v5, s13
	;; [unrolled: 1-line block ×3, first 2 shown]
	v_add_co_u32_e32 v8, vcc, s12, v0
	v_or_b32_e32 v9, 16, v4
	v_addc_co_u32_e32 v5, vcc, v5, v1, vcc
	v_lshlrev_b64 v[0:1], 2, v[2:3]
	v_mad_u64_u32 v[2:3], s[0:1], s8, v9, 0
	v_add_co_u32_e32 v8, vcc, v8, v0
	v_fma_f16 v11, v11, 2.0, -v17
	v_addc_co_u32_e32 v17, vcc, v5, v1, vcc
	v_lshlrev_b64 v[0:1], 2, v[6:7]
	v_mad_u64_u32 v[5:6], s[0:1], s9, v9, v[3:4]
	v_sub_f16_e32 v10, v27, v11
	v_fma_f16 v11, v27, 2.0, -v10
	v_add_co_u32_e32 v0, vcc, v8, v0
	v_addc_co_u32_e32 v1, vcc, v17, v1, vcc
	v_pack_b32_f16 v3, v11, v19
	global_store_dword v[0:1], v3, off
	v_mov_b32_e32 v3, v5
	v_or_b32_e32 v5, 32, v4
	v_lshlrev_b64 v[0:1], 2, v[2:3]
	v_mad_u64_u32 v[2:3], s[0:1], s8, v5, 0
	v_or_b32_e32 v11, 48, v4
	v_fma_f16 v12, v12, 2.0, -v26
	v_mad_u64_u32 v[5:6], s[0:1], s9, v5, v[3:4]
	v_mad_u64_u32 v[6:7], s[0:1], s8, v11, 0
	v_add_co_u32_e32 v0, vcc, v8, v0
	v_addc_co_u32_e32 v1, vcc, v17, v1, vcc
	v_pack_b32_f16 v9, v23, v12
	v_mov_b32_e32 v3, v5
	global_store_dword v[0:1], v9, off
	v_lshlrev_b64 v[0:1], 2, v[2:3]
	v_mov_b32_e32 v2, v7
	v_mad_u64_u32 v[2:3], s[0:1], s9, v11, v[2:3]
	v_add_co_u32_e32 v0, vcc, v8, v0
	v_addc_co_u32_e32 v1, vcc, v17, v1, vcc
	v_pack_b32_f16 v3, v25, v24
	v_or_b32_e32 v5, 64, v4
	global_store_dword v[0:1], v3, off
	v_mov_b32_e32 v7, v2
	v_mad_u64_u32 v[2:3], s[0:1], s8, v5, 0
	v_lshlrev_b64 v[0:1], 2, v[6:7]
	v_or_b32_e32 v11, 0x50, v4
	v_mad_u64_u32 v[5:6], s[0:1], s9, v5, v[3:4]
	v_mad_u64_u32 v[6:7], s[0:1], s8, v11, 0
	v_fma_f16 v18, v18, 2.0, -v14
	v_fma_f16 v22, v22, 2.0, -v16
	v_add_co_u32_e32 v0, vcc, v8, v0
	v_addc_co_u32_e32 v1, vcc, v17, v1, vcc
	v_pack_b32_f16 v9, v22, v18
	v_mov_b32_e32 v3, v5
	global_store_dword v[0:1], v9, off
	v_lshlrev_b64 v[0:1], 2, v[2:3]
	v_mov_b32_e32 v2, v7
	v_mad_u64_u32 v[2:3], s[0:1], s9, v11, v[2:3]
	v_add_co_u32_e32 v0, vcc, v8, v0
	v_addc_co_u32_e32 v1, vcc, v17, v1, vcc
	v_pack_b32_f16 v3, v10, v15
	v_or_b32_e32 v5, 0x60, v4
	global_store_dword v[0:1], v3, off
	v_mov_b32_e32 v7, v2
	v_mad_u64_u32 v[2:3], s[0:1], s8, v5, 0
	v_lshlrev_b64 v[0:1], 2, v[6:7]
	v_pack_b32_f16 v9, v13, v26
	v_mad_u64_u32 v[5:6], s[0:1], s9, v5, v[3:4]
	v_or_b32_e32 v4, 0x70, v4
	v_mad_u64_u32 v[6:7], s[0:1], s8, v4, 0
	v_add_co_u32_e32 v0, vcc, v8, v0
	v_addc_co_u32_e32 v1, vcc, v17, v1, vcc
	v_mov_b32_e32 v3, v5
	global_store_dword v[0:1], v9, off
	v_lshlrev_b64 v[0:1], 2, v[2:3]
	v_mov_b32_e32 v2, v7
	v_mad_u64_u32 v[2:3], s[0:1], s9, v4, v[2:3]
	v_add_co_u32_e32 v0, vcc, v8, v0
	v_addc_co_u32_e32 v1, vcc, v17, v1, vcc
	v_pack_b32_f16 v3, v21, v20
	v_mov_b32_e32 v7, v2
	global_store_dword v[0:1], v3, off
	v_lshlrev_b64 v[0:1], 2, v[6:7]
	v_pack_b32_f16 v2, v16, v14
	v_add_co_u32_e32 v0, vcc, v8, v0
	v_addc_co_u32_e32 v1, vcc, v17, v1, vcc
	global_store_dword v[0:1], v2, off
.LBB0_17:
	s_endpgm
.LBB0_18:
	v_mad_u64_u32 v[2:3], s[4:5], s10, v5, 0
	v_mad_u64_u32 v[6:7], s[4:5], s8, v4, 0
	;; [unrolled: 1-line block ×3, first 2 shown]
	v_mov_b32_e32 v3, v7
	v_mad_u64_u32 v[9:10], s[4:5], s9, v4, v[3:4]
	v_mov_b32_e32 v3, v8
	v_mov_b32_e32 v8, s13
	v_add_co_u32_e64 v10, s[4:5], s12, v0
	v_or_b32_e32 v12, 8, v4
	v_mov_b32_e32 v7, v9
	v_addc_co_u32_e64 v11, s[4:5], v8, v1, s[4:5]
	v_mad_u64_u32 v[8:9], s[4:5], s8, v12, 0
	v_lshlrev_b64 v[2:3], 2, v[2:3]
	v_add_co_u32_e64 v14, s[4:5], v10, v2
	v_addc_co_u32_e64 v15, s[4:5], v11, v3, s[4:5]
	v_lshlrev_b64 v[2:3], 2, v[6:7]
	v_mov_b32_e32 v6, v9
	v_mad_u64_u32 v[6:7], s[4:5], s9, v12, v[6:7]
	v_or_b32_e32 v12, 16, v4
	v_mad_u64_u32 v[10:11], s[4:5], s8, v12, 0
	v_mov_b32_e32 v9, v6
	v_add_co_u32_e64 v2, s[4:5], v14, v2
	v_lshlrev_b64 v[6:7], 2, v[8:9]
	v_mov_b32_e32 v8, v11
	v_addc_co_u32_e64 v3, s[4:5], v15, v3, s[4:5]
	v_mad_u64_u32 v[8:9], s[4:5], s9, v12, v[8:9]
	v_or_b32_e32 v9, 24, v4
	v_mad_u64_u32 v[12:13], s[4:5], s8, v9, 0
	v_add_co_u32_e64 v16, s[4:5], v14, v6
	v_mov_b32_e32 v11, v8
	v_mov_b32_e32 v8, v13
	v_addc_co_u32_e64 v17, s[4:5], v15, v7, s[4:5]
	v_lshlrev_b64 v[6:7], 2, v[10:11]
	v_mad_u64_u32 v[8:9], s[4:5], s9, v9, v[8:9]
	v_or_b32_e32 v11, 32, v4
	v_mad_u64_u32 v[9:10], s[4:5], s8, v11, 0
	v_add_co_u32_e64 v21, s[4:5], v14, v6
	v_mov_b32_e32 v13, v8
	v_mov_b32_e32 v8, v10
	v_addc_co_u32_e64 v22, s[4:5], v15, v7, s[4:5]
	v_lshlrev_b64 v[6:7], 2, v[12:13]
	v_mad_u64_u32 v[10:11], s[4:5], s9, v11, v[8:9]
	v_or_b32_e32 v13, 40, v4
	v_mad_u64_u32 v[11:12], s[4:5], s8, v13, 0
	v_add_co_u32_e64 v23, s[4:5], v14, v6
	v_mov_b32_e32 v8, v12
	v_addc_co_u32_e64 v24, s[4:5], v15, v7, s[4:5]
	v_lshlrev_b64 v[6:7], 2, v[9:10]
	v_mad_u64_u32 v[8:9], s[4:5], s9, v13, v[8:9]
	v_or_b32_e32 v13, 48, v4
	v_mad_u64_u32 v[9:10], s[4:5], s8, v13, 0
	v_add_co_u32_e64 v25, s[4:5], v14, v6
	v_mov_b32_e32 v12, v8
	v_mov_b32_e32 v8, v10
	v_addc_co_u32_e64 v26, s[4:5], v15, v7, s[4:5]
	v_lshlrev_b64 v[6:7], 2, v[11:12]
	v_mad_u64_u32 v[10:11], s[4:5], s9, v13, v[8:9]
	v_or_b32_e32 v13, 56, v4
	v_mad_u64_u32 v[11:12], s[4:5], s8, v13, 0
	v_add_co_u32_e64 v27, s[4:5], v14, v6
	;; [unrolled: 15-line block ×6, first 2 shown]
	v_mov_b32_e32 v8, v12
	v_addc_co_u32_e64 v44, s[4:5], v15, v7, s[4:5]
	v_lshlrev_b64 v[6:7], 2, v[9:10]
	v_mad_u64_u32 v[8:9], s[4:5], s9, v13, v[8:9]
	v_add_co_u32_e64 v45, s[4:5], v14, v6
	v_mov_b32_e32 v12, v8
	v_addc_co_u32_e64 v46, s[4:5], v15, v7, s[4:5]
	v_lshlrev_b64 v[6:7], 2, v[11:12]
	v_add_co_u32_e64 v12, s[4:5], v14, v6
	v_addc_co_u32_e64 v13, s[4:5], v15, v7, s[4:5]
	global_load_dword v47, v[31:32], off
	global_load_dword v9, v[29:30], off
	;; [unrolled: 1-line block ×15, first 2 shown]
                                        ; kill: killed $vgpr27 killed $vgpr28
                                        ; kill: killed $vgpr41 killed $vgpr42
                                        ; kill: killed $vgpr21 killed $vgpr22
                                        ; kill: killed $vgpr35 killed $vgpr36
                                        ; kill: killed $vgpr29 killed $vgpr30
                                        ; kill: killed $vgpr43 killed $vgpr44
                                        ; kill: killed $vgpr23 killed $vgpr24
                                        ; kill: killed $vgpr37 killed $vgpr38
                                        ; kill: killed $vgpr31 killed $vgpr32
                                        ; kill: killed $vgpr45 killed $vgpr46
                                        ; kill: killed $vgpr39 killed $vgpr40
                                        ; kill: killed $vgpr12 killed $vgpr13
                                        ; kill: killed $vgpr2 killed $vgpr3
                                        ; kill: killed $vgpr25 killed $vgpr26
                                        ; kill: killed $vgpr16 killed $vgpr17
	global_load_dword v17, v[33:34], off
	s_waitcnt vmcnt(15)
	v_alignbit_b32 v13, v47, v47, 16
	s_waitcnt vmcnt(11)
	v_alignbit_b32 v12, v48, v48, 16
	;; [unrolled: 2-line block ×4, first 2 shown]
	s_or_b64 exec, exec, s[6:7]
	s_andn2_b64 vcc, exec, vcc
	v_or_b32_e32 v2, s18, v5
	s_cbranch_vccnz .LBB0_13
.LBB0_19:
	v_mov_b32_e32 v3, s19
	v_cmp_gt_u64_e32 vcc, s[14:15], v[2:3]
	s_and_b64 s[6:7], s[2:3], vcc
	s_and_saveexec_b64 s[4:5], s[6:7]
	s_cbranch_execz .LBB0_21
; %bb.20:
	v_mad_u64_u32 v[6:7], s[6:7], s10, v5, 0
	v_mad_u64_u32 v[8:9], s[6:7], s8, v4, 0
	v_mov_b32_e32 v3, v7
	v_mad_u64_u32 v[10:11], s[6:7], s11, v5, v[3:4]
	v_mov_b32_e32 v3, v9
	v_mad_u64_u32 v[11:12], s[6:7], s9, v4, v[3:4]
	v_or_b32_e32 v13, 8, v4
	v_mov_b32_e32 v7, v10
	v_mov_b32_e32 v9, v11
	v_mad_u64_u32 v[10:11], s[6:7], s8, v13, 0
	v_mov_b32_e32 v3, s13
	v_add_co_u32_e32 v12, vcc, s12, v0
	v_lshlrev_b64 v[6:7], 2, v[6:7]
	v_addc_co_u32_e32 v3, vcc, v3, v1, vcc
	v_add_co_u32_e32 v14, vcc, v12, v6
	s_waitcnt vmcnt(2)
	v_addc_co_u32_e32 v15, vcc, v3, v7, vcc
	v_mov_b32_e32 v3, v11
	v_lshlrev_b64 v[6:7], 2, v[8:9]
	v_mad_u64_u32 v[8:9], s[6:7], s9, v13, v[3:4]
	v_or_b32_e32 v9, 16, v4
	v_mad_u64_u32 v[12:13], s[6:7], s8, v9, 0
	v_add_co_u32_e32 v21, vcc, v14, v6
	v_mov_b32_e32 v11, v8
	v_mov_b32_e32 v3, v13
	v_addc_co_u32_e32 v22, vcc, v15, v7, vcc
	v_lshlrev_b64 v[6:7], 2, v[10:11]
	v_mad_u64_u32 v[8:9], s[6:7], s9, v9, v[3:4]
	v_or_b32_e32 v11, 24, v4
	v_mad_u64_u32 v[9:10], s[6:7], s8, v11, 0
	v_add_co_u32_e32 v23, vcc, v14, v6
	v_mov_b32_e32 v3, v10
	v_mov_b32_e32 v13, v8
	v_mad_u64_u32 v[10:11], s[6:7], s9, v11, v[3:4]
	v_or_b32_e32 v8, 32, v4
	v_addc_co_u32_e32 v24, vcc, v15, v7, vcc
	v_lshlrev_b64 v[6:7], 2, v[12:13]
	v_mad_u64_u32 v[11:12], s[6:7], s8, v8, 0
	v_add_co_u32_e32 v25, vcc, v14, v6
	v_mov_b32_e32 v3, v12
	v_addc_co_u32_e32 v26, vcc, v15, v7, vcc
	v_lshlrev_b64 v[6:7], 2, v[9:10]
	v_mad_u64_u32 v[8:9], s[6:7], s9, v8, v[3:4]
	v_or_b32_e32 v13, 40, v4
	v_mad_u64_u32 v[9:10], s[6:7], s8, v13, 0
	v_add_co_u32_e32 v27, vcc, v14, v6
	v_mov_b32_e32 v12, v8
	v_mov_b32_e32 v3, v10
	v_addc_co_u32_e32 v28, vcc, v15, v7, vcc
	v_lshlrev_b64 v[6:7], 2, v[11:12]
	v_mad_u64_u32 v[10:11], s[6:7], s9, v13, v[3:4]
	v_or_b32_e32 v8, 48, v4
	v_mad_u64_u32 v[11:12], s[6:7], s8, v8, 0
	v_add_co_u32_e32 v29, vcc, v14, v6
	v_mov_b32_e32 v3, v12
	v_addc_co_u32_e32 v30, vcc, v15, v7, vcc
	v_lshlrev_b64 v[6:7], 2, v[9:10]
	v_mad_u64_u32 v[8:9], s[6:7], s9, v8, v[3:4]
	v_or_b32_e32 v13, 56, v4
	v_mad_u64_u32 v[9:10], s[6:7], s8, v13, 0
	v_add_co_u32_e32 v31, vcc, v14, v6
	v_mov_b32_e32 v12, v8
	v_mov_b32_e32 v3, v10
	v_addc_co_u32_e32 v32, vcc, v15, v7, vcc
	v_lshlrev_b64 v[6:7], 2, v[11:12]
	v_mad_u64_u32 v[10:11], s[6:7], s9, v13, v[3:4]
	v_or_b32_e32 v8, 64, v4
	;; [unrolled: 15-line block ×5, first 2 shown]
	v_mad_u64_u32 v[11:12], s[6:7], s8, v8, 0
	v_add_co_u32_e32 v45, vcc, v14, v6
	v_mov_b32_e32 v3, v12
	v_addc_co_u32_e32 v46, vcc, v15, v7, vcc
	v_lshlrev_b64 v[6:7], 2, v[9:10]
	v_mad_u64_u32 v[8:9], s[6:7], s9, v8, v[3:4]
	v_or_b32_e32 v13, 0x78, v4
	v_mad_u64_u32 v[9:10], s[6:7], s8, v13, 0
	v_add_co_u32_e32 v47, vcc, v14, v6
	v_mov_b32_e32 v12, v8
	v_mov_b32_e32 v3, v10
	v_addc_co_u32_e32 v48, vcc, v15, v7, vcc
	v_lshlrev_b64 v[6:7], 2, v[11:12]
	v_mad_u64_u32 v[10:11], s[6:7], s9, v13, v[3:4]
	v_add_co_u32_e32 v12, vcc, v14, v6
	v_addc_co_u32_e32 v13, vcc, v15, v7, vcc
	v_lshlrev_b64 v[6:7], 2, v[9:10]
	v_add_co_u32_e32 v49, vcc, v14, v6
	v_addc_co_u32_e32 v50, vcc, v15, v7, vcc
	global_load_dword v6, v[21:22], off
	global_load_dword v10, v[23:24], off
	;; [unrolled: 1-line block ×15, first 2 shown]
                                        ; kill: killed $vgpr31 killed $vgpr32
                                        ; kill: killed $vgpr43 killed $vgpr44
                                        ; kill: killed $vgpr21 killed $vgpr22
                                        ; kill: killed $vgpr33 killed $vgpr34
                                        ; kill: killed $vgpr45 killed $vgpr46
                                        ; kill: killed $vgpr23 killed $vgpr24
                                        ; kill: killed $vgpr35 killed $vgpr36
                                        ; kill: killed $vgpr47 killed $vgpr48
                                        ; kill: killed $vgpr25 killed $vgpr26
                                        ; kill: killed $vgpr37 killed $vgpr38
                                        ; kill: killed $vgpr27 killed $vgpr28
                                        ; kill: killed $vgpr39 killed $vgpr40
                                        ; kill: killed $vgpr49 killed $vgpr50
                                        ; kill: killed $vgpr29 killed $vgpr30
                                        ; kill: killed $vgpr41 killed $vgpr42
	global_load_dword v18, v[12:13], off
	s_waitcnt vmcnt(12)
	v_alignbit_b32 v12, v3, v3, 16
	s_waitcnt vmcnt(8)
	v_alignbit_b32 v13, v16, v16, 16
	;; [unrolled: 2-line block ×4, first 2 shown]
.LBB0_21:
	s_or_b64 exec, exec, s[4:5]
	v_lshlrev_b32_e32 v16, 2, v5
	s_and_saveexec_b64 s[4:5], s[2:3]
	s_cbranch_execnz .LBB0_14
	s_branch .LBB0_15
	.section	.rodata,"a",@progbits
	.p2align	6, 0x0
	.amdhsa_kernel fft_rtc_back_len128_factors_16_8_wgs_256_tpt_16_half_ip_CI_sbcc_dirReg
		.amdhsa_group_segment_fixed_size 0
		.amdhsa_private_segment_fixed_size 0
		.amdhsa_kernarg_size 96
		.amdhsa_user_sgpr_count 6
		.amdhsa_user_sgpr_private_segment_buffer 1
		.amdhsa_user_sgpr_dispatch_ptr 0
		.amdhsa_user_sgpr_queue_ptr 0
		.amdhsa_user_sgpr_kernarg_segment_ptr 1
		.amdhsa_user_sgpr_dispatch_id 0
		.amdhsa_user_sgpr_flat_scratch_init 0
		.amdhsa_user_sgpr_private_segment_size 0
		.amdhsa_uses_dynamic_stack 0
		.amdhsa_system_sgpr_private_segment_wavefront_offset 0
		.amdhsa_system_sgpr_workgroup_id_x 1
		.amdhsa_system_sgpr_workgroup_id_y 0
		.amdhsa_system_sgpr_workgroup_id_z 0
		.amdhsa_system_sgpr_workgroup_info 0
		.amdhsa_system_vgpr_workitem_id 0
		.amdhsa_next_free_vgpr 53
		.amdhsa_next_free_sgpr 41
		.amdhsa_reserve_vcc 1
		.amdhsa_reserve_flat_scratch 0
		.amdhsa_float_round_mode_32 0
		.amdhsa_float_round_mode_16_64 0
		.amdhsa_float_denorm_mode_32 3
		.amdhsa_float_denorm_mode_16_64 3
		.amdhsa_dx10_clamp 1
		.amdhsa_ieee_mode 1
		.amdhsa_fp16_overflow 0
		.amdhsa_exception_fp_ieee_invalid_op 0
		.amdhsa_exception_fp_denorm_src 0
		.amdhsa_exception_fp_ieee_div_zero 0
		.amdhsa_exception_fp_ieee_overflow 0
		.amdhsa_exception_fp_ieee_underflow 0
		.amdhsa_exception_fp_ieee_inexact 0
		.amdhsa_exception_int_div_zero 0
	.end_amdhsa_kernel
	.text
.Lfunc_end0:
	.size	fft_rtc_back_len128_factors_16_8_wgs_256_tpt_16_half_ip_CI_sbcc_dirReg, .Lfunc_end0-fft_rtc_back_len128_factors_16_8_wgs_256_tpt_16_half_ip_CI_sbcc_dirReg
                                        ; -- End function
	.section	.AMDGPU.csdata,"",@progbits
; Kernel info:
; codeLenInByte = 5804
; NumSgprs: 45
; NumVgprs: 53
; ScratchSize: 0
; MemoryBound: 0
; FloatMode: 240
; IeeeMode: 1
; LDSByteSize: 0 bytes/workgroup (compile time only)
; SGPRBlocks: 5
; VGPRBlocks: 13
; NumSGPRsForWavesPerEU: 45
; NumVGPRsForWavesPerEU: 53
; Occupancy: 4
; WaveLimiterHint : 1
; COMPUTE_PGM_RSRC2:SCRATCH_EN: 0
; COMPUTE_PGM_RSRC2:USER_SGPR: 6
; COMPUTE_PGM_RSRC2:TRAP_HANDLER: 0
; COMPUTE_PGM_RSRC2:TGID_X_EN: 1
; COMPUTE_PGM_RSRC2:TGID_Y_EN: 0
; COMPUTE_PGM_RSRC2:TGID_Z_EN: 0
; COMPUTE_PGM_RSRC2:TIDIG_COMP_CNT: 0
	.type	__hip_cuid_ea472442e134a4dd,@object ; @__hip_cuid_ea472442e134a4dd
	.section	.bss,"aw",@nobits
	.globl	__hip_cuid_ea472442e134a4dd
__hip_cuid_ea472442e134a4dd:
	.byte	0                               ; 0x0
	.size	__hip_cuid_ea472442e134a4dd, 1

	.ident	"AMD clang version 19.0.0git (https://github.com/RadeonOpenCompute/llvm-project roc-6.4.0 25133 c7fe45cf4b819c5991fe208aaa96edf142730f1d)"
	.section	".note.GNU-stack","",@progbits
	.addrsig
	.addrsig_sym __hip_cuid_ea472442e134a4dd
	.amdgpu_metadata
---
amdhsa.kernels:
  - .args:
      - .actual_access:  read_only
        .address_space:  global
        .offset:         0
        .size:           8
        .value_kind:     global_buffer
      - .address_space:  global
        .offset:         8
        .size:           8
        .value_kind:     global_buffer
      - .offset:         16
        .size:           8
        .value_kind:     by_value
      - .actual_access:  read_only
        .address_space:  global
        .offset:         24
        .size:           8
        .value_kind:     global_buffer
      - .actual_access:  read_only
        .address_space:  global
        .offset:         32
        .size:           8
        .value_kind:     global_buffer
      - .offset:         40
        .size:           8
        .value_kind:     by_value
      - .actual_access:  read_only
        .address_space:  global
        .offset:         48
        .size:           8
        .value_kind:     global_buffer
      - .actual_access:  read_only
        .address_space:  global
        .offset:         56
        .size:           8
        .value_kind:     global_buffer
      - .offset:         64
        .size:           4
        .value_kind:     by_value
      - .actual_access:  read_only
        .address_space:  global
        .offset:         72
        .size:           8
        .value_kind:     global_buffer
      - .actual_access:  read_only
        .address_space:  global
        .offset:         80
        .size:           8
        .value_kind:     global_buffer
      - .address_space:  global
        .offset:         88
        .size:           8
        .value_kind:     global_buffer
    .group_segment_fixed_size: 0
    .kernarg_segment_align: 8
    .kernarg_segment_size: 96
    .language:       OpenCL C
    .language_version:
      - 2
      - 0
    .max_flat_workgroup_size: 256
    .name:           fft_rtc_back_len128_factors_16_8_wgs_256_tpt_16_half_ip_CI_sbcc_dirReg
    .private_segment_fixed_size: 0
    .sgpr_count:     45
    .sgpr_spill_count: 0
    .symbol:         fft_rtc_back_len128_factors_16_8_wgs_256_tpt_16_half_ip_CI_sbcc_dirReg.kd
    .uniform_work_group_size: 1
    .uses_dynamic_stack: false
    .vgpr_count:     53
    .vgpr_spill_count: 0
    .wavefront_size: 64
amdhsa.target:   amdgcn-amd-amdhsa--gfx906
amdhsa.version:
  - 1
  - 2
...

	.end_amdgpu_metadata
